;; amdgpu-corpus repo=ROCm/rocFFT kind=compiled arch=gfx1201 opt=O3
	.text
	.amdgcn_target "amdgcn-amd-amdhsa--gfx1201"
	.amdhsa_code_object_version 6
	.protected	fft_rtc_fwd_len630_factors_3_3_5_7_2_wgs_63_tpt_63_halfLds_sp_ip_CI_unitstride_sbrr_R2C_dirReg ; -- Begin function fft_rtc_fwd_len630_factors_3_3_5_7_2_wgs_63_tpt_63_halfLds_sp_ip_CI_unitstride_sbrr_R2C_dirReg
	.globl	fft_rtc_fwd_len630_factors_3_3_5_7_2_wgs_63_tpt_63_halfLds_sp_ip_CI_unitstride_sbrr_R2C_dirReg
	.p2align	8
	.type	fft_rtc_fwd_len630_factors_3_3_5_7_2_wgs_63_tpt_63_halfLds_sp_ip_CI_unitstride_sbrr_R2C_dirReg,@function
fft_rtc_fwd_len630_factors_3_3_5_7_2_wgs_63_tpt_63_halfLds_sp_ip_CI_unitstride_sbrr_R2C_dirReg: ; @fft_rtc_fwd_len630_factors_3_3_5_7_2_wgs_63_tpt_63_halfLds_sp_ip_CI_unitstride_sbrr_R2C_dirReg
; %bb.0:
	s_clause 0x2
	s_load_b128 s[4:7], s[0:1], 0x0
	s_load_b64 s[8:9], s[0:1], 0x50
	s_load_b64 s[10:11], s[0:1], 0x18
	v_mul_u32_u24_e32 v1, 0x411, v0
	v_mov_b32_e32 v3, 0
	s_delay_alu instid0(VALU_DEP_2) | instskip(NEXT) | instid1(VALU_DEP_1)
	v_lshrrev_b32_e32 v1, 16, v1
	v_add_nc_u32_e32 v5, ttmp9, v1
	v_mov_b32_e32 v1, 0
	v_mov_b32_e32 v2, 0
	;; [unrolled: 1-line block ×3, first 2 shown]
	s_wait_kmcnt 0x0
	v_cmp_lt_u64_e64 s2, s[6:7], 2
	s_delay_alu instid0(VALU_DEP_1)
	s_and_b32 vcc_lo, exec_lo, s2
	s_cbranch_vccnz .LBB0_8
; %bb.1:
	s_load_b64 s[2:3], s[0:1], 0x10
	v_mov_b32_e32 v1, 0
	v_mov_b32_e32 v2, 0
	s_add_nc_u64 s[12:13], s[10:11], 8
	s_mov_b64 s[14:15], 1
	s_wait_kmcnt 0x0
	s_add_nc_u64 s[16:17], s[2:3], 8
	s_mov_b32 s3, 0
.LBB0_2:                                ; =>This Inner Loop Header: Depth=1
	s_load_b64 s[18:19], s[16:17], 0x0
                                        ; implicit-def: $vgpr7_vgpr8
	s_mov_b32 s2, exec_lo
	s_wait_kmcnt 0x0
	v_or_b32_e32 v4, s19, v6
	s_delay_alu instid0(VALU_DEP_1)
	v_cmpx_ne_u64_e32 0, v[3:4]
	s_wait_alu 0xfffe
	s_xor_b32 s20, exec_lo, s2
	s_cbranch_execz .LBB0_4
; %bb.3:                                ;   in Loop: Header=BB0_2 Depth=1
	s_cvt_f32_u32 s2, s18
	s_cvt_f32_u32 s21, s19
	s_sub_nc_u64 s[24:25], 0, s[18:19]
	s_wait_alu 0xfffe
	s_delay_alu instid0(SALU_CYCLE_1) | instskip(SKIP_1) | instid1(SALU_CYCLE_2)
	s_fmamk_f32 s2, s21, 0x4f800000, s2
	s_wait_alu 0xfffe
	v_s_rcp_f32 s2, s2
	s_delay_alu instid0(TRANS32_DEP_1) | instskip(SKIP_1) | instid1(SALU_CYCLE_2)
	s_mul_f32 s2, s2, 0x5f7ffffc
	s_wait_alu 0xfffe
	s_mul_f32 s21, s2, 0x2f800000
	s_wait_alu 0xfffe
	s_delay_alu instid0(SALU_CYCLE_2) | instskip(SKIP_1) | instid1(SALU_CYCLE_2)
	s_trunc_f32 s21, s21
	s_wait_alu 0xfffe
	s_fmamk_f32 s2, s21, 0xcf800000, s2
	s_cvt_u32_f32 s23, s21
	s_wait_alu 0xfffe
	s_delay_alu instid0(SALU_CYCLE_1) | instskip(SKIP_1) | instid1(SALU_CYCLE_2)
	s_cvt_u32_f32 s22, s2
	s_wait_alu 0xfffe
	s_mul_u64 s[26:27], s[24:25], s[22:23]
	s_wait_alu 0xfffe
	s_mul_hi_u32 s29, s22, s27
	s_mul_i32 s28, s22, s27
	s_mul_hi_u32 s2, s22, s26
	s_mul_i32 s30, s23, s26
	s_wait_alu 0xfffe
	s_add_nc_u64 s[28:29], s[2:3], s[28:29]
	s_mul_hi_u32 s21, s23, s26
	s_mul_hi_u32 s31, s23, s27
	s_add_co_u32 s2, s28, s30
	s_wait_alu 0xfffe
	s_add_co_ci_u32 s2, s29, s21
	s_mul_i32 s26, s23, s27
	s_add_co_ci_u32 s27, s31, 0
	s_wait_alu 0xfffe
	s_add_nc_u64 s[26:27], s[2:3], s[26:27]
	s_wait_alu 0xfffe
	v_add_co_u32 v4, s2, s22, s26
	s_delay_alu instid0(VALU_DEP_1) | instskip(SKIP_1) | instid1(VALU_DEP_1)
	s_cmp_lg_u32 s2, 0
	s_add_co_ci_u32 s23, s23, s27
	v_readfirstlane_b32 s22, v4
	s_wait_alu 0xfffe
	s_delay_alu instid0(VALU_DEP_1)
	s_mul_u64 s[24:25], s[24:25], s[22:23]
	s_wait_alu 0xfffe
	s_mul_hi_u32 s27, s22, s25
	s_mul_i32 s26, s22, s25
	s_mul_hi_u32 s2, s22, s24
	s_mul_i32 s28, s23, s24
	s_wait_alu 0xfffe
	s_add_nc_u64 s[26:27], s[2:3], s[26:27]
	s_mul_hi_u32 s21, s23, s24
	s_mul_hi_u32 s22, s23, s25
	s_wait_alu 0xfffe
	s_add_co_u32 s2, s26, s28
	s_add_co_ci_u32 s2, s27, s21
	s_mul_i32 s24, s23, s25
	s_add_co_ci_u32 s25, s22, 0
	s_wait_alu 0xfffe
	s_add_nc_u64 s[24:25], s[2:3], s[24:25]
	s_wait_alu 0xfffe
	v_add_co_u32 v4, s2, v4, s24
	s_delay_alu instid0(VALU_DEP_1) | instskip(SKIP_1) | instid1(VALU_DEP_1)
	s_cmp_lg_u32 s2, 0
	s_add_co_ci_u32 s2, s23, s25
	v_mul_hi_u32 v13, v5, v4
	s_wait_alu 0xfffe
	v_mad_co_u64_u32 v[7:8], null, v5, s2, 0
	v_mad_co_u64_u32 v[9:10], null, v6, v4, 0
	;; [unrolled: 1-line block ×3, first 2 shown]
	s_delay_alu instid0(VALU_DEP_3) | instskip(SKIP_1) | instid1(VALU_DEP_4)
	v_add_co_u32 v4, vcc_lo, v13, v7
	s_wait_alu 0xfffd
	v_add_co_ci_u32_e32 v7, vcc_lo, 0, v8, vcc_lo
	s_delay_alu instid0(VALU_DEP_2) | instskip(SKIP_1) | instid1(VALU_DEP_2)
	v_add_co_u32 v4, vcc_lo, v4, v9
	s_wait_alu 0xfffd
	v_add_co_ci_u32_e32 v4, vcc_lo, v7, v10, vcc_lo
	s_wait_alu 0xfffd
	v_add_co_ci_u32_e32 v7, vcc_lo, 0, v12, vcc_lo
	s_delay_alu instid0(VALU_DEP_2) | instskip(SKIP_1) | instid1(VALU_DEP_2)
	v_add_co_u32 v4, vcc_lo, v4, v11
	s_wait_alu 0xfffd
	v_add_co_ci_u32_e32 v9, vcc_lo, 0, v7, vcc_lo
	s_delay_alu instid0(VALU_DEP_2) | instskip(SKIP_1) | instid1(VALU_DEP_3)
	v_mul_lo_u32 v10, s19, v4
	v_mad_co_u64_u32 v[7:8], null, s18, v4, 0
	v_mul_lo_u32 v11, s18, v9
	s_delay_alu instid0(VALU_DEP_2) | instskip(NEXT) | instid1(VALU_DEP_2)
	v_sub_co_u32 v7, vcc_lo, v5, v7
	v_add3_u32 v8, v8, v11, v10
	s_delay_alu instid0(VALU_DEP_1) | instskip(SKIP_1) | instid1(VALU_DEP_1)
	v_sub_nc_u32_e32 v10, v6, v8
	s_wait_alu 0xfffd
	v_subrev_co_ci_u32_e64 v10, s2, s19, v10, vcc_lo
	v_add_co_u32 v11, s2, v4, 2
	s_wait_alu 0xf1ff
	v_add_co_ci_u32_e64 v12, s2, 0, v9, s2
	v_sub_co_u32 v13, s2, v7, s18
	v_sub_co_ci_u32_e32 v8, vcc_lo, v6, v8, vcc_lo
	s_wait_alu 0xf1ff
	v_subrev_co_ci_u32_e64 v10, s2, 0, v10, s2
	s_delay_alu instid0(VALU_DEP_3) | instskip(NEXT) | instid1(VALU_DEP_3)
	v_cmp_le_u32_e32 vcc_lo, s18, v13
	v_cmp_eq_u32_e64 s2, s19, v8
	s_wait_alu 0xfffd
	v_cndmask_b32_e64 v13, 0, -1, vcc_lo
	v_cmp_le_u32_e32 vcc_lo, s19, v10
	s_wait_alu 0xfffd
	v_cndmask_b32_e64 v14, 0, -1, vcc_lo
	v_cmp_le_u32_e32 vcc_lo, s18, v7
	;; [unrolled: 3-line block ×3, first 2 shown]
	s_wait_alu 0xfffd
	v_cndmask_b32_e64 v15, 0, -1, vcc_lo
	v_cmp_eq_u32_e32 vcc_lo, s19, v10
	s_wait_alu 0xf1ff
	s_delay_alu instid0(VALU_DEP_2)
	v_cndmask_b32_e64 v7, v15, v7, s2
	s_wait_alu 0xfffd
	v_cndmask_b32_e32 v10, v14, v13, vcc_lo
	v_add_co_u32 v13, vcc_lo, v4, 1
	s_wait_alu 0xfffd
	v_add_co_ci_u32_e32 v14, vcc_lo, 0, v9, vcc_lo
	s_delay_alu instid0(VALU_DEP_3) | instskip(SKIP_2) | instid1(VALU_DEP_3)
	v_cmp_ne_u32_e32 vcc_lo, 0, v10
	s_wait_alu 0xfffd
	v_cndmask_b32_e32 v10, v13, v11, vcc_lo
	v_cndmask_b32_e32 v8, v14, v12, vcc_lo
	v_cmp_ne_u32_e32 vcc_lo, 0, v7
	s_wait_alu 0xfffd
	s_delay_alu instid0(VALU_DEP_2)
	v_dual_cndmask_b32 v7, v4, v10 :: v_dual_cndmask_b32 v8, v9, v8
.LBB0_4:                                ;   in Loop: Header=BB0_2 Depth=1
	s_wait_alu 0xfffe
	s_and_not1_saveexec_b32 s2, s20
	s_cbranch_execz .LBB0_6
; %bb.5:                                ;   in Loop: Header=BB0_2 Depth=1
	v_cvt_f32_u32_e32 v4, s18
	s_sub_co_i32 s20, 0, s18
	s_delay_alu instid0(VALU_DEP_1) | instskip(NEXT) | instid1(TRANS32_DEP_1)
	v_rcp_iflag_f32_e32 v4, v4
	v_mul_f32_e32 v4, 0x4f7ffffe, v4
	s_delay_alu instid0(VALU_DEP_1) | instskip(SKIP_1) | instid1(VALU_DEP_1)
	v_cvt_u32_f32_e32 v4, v4
	s_wait_alu 0xfffe
	v_mul_lo_u32 v7, s20, v4
	s_delay_alu instid0(VALU_DEP_1) | instskip(NEXT) | instid1(VALU_DEP_1)
	v_mul_hi_u32 v7, v4, v7
	v_add_nc_u32_e32 v4, v4, v7
	s_delay_alu instid0(VALU_DEP_1) | instskip(NEXT) | instid1(VALU_DEP_1)
	v_mul_hi_u32 v4, v5, v4
	v_mul_lo_u32 v7, v4, s18
	v_add_nc_u32_e32 v8, 1, v4
	s_delay_alu instid0(VALU_DEP_2) | instskip(NEXT) | instid1(VALU_DEP_1)
	v_sub_nc_u32_e32 v7, v5, v7
	v_subrev_nc_u32_e32 v9, s18, v7
	v_cmp_le_u32_e32 vcc_lo, s18, v7
	s_wait_alu 0xfffd
	s_delay_alu instid0(VALU_DEP_2) | instskip(NEXT) | instid1(VALU_DEP_1)
	v_dual_cndmask_b32 v7, v7, v9 :: v_dual_cndmask_b32 v4, v4, v8
	v_cmp_le_u32_e32 vcc_lo, s18, v7
	s_delay_alu instid0(VALU_DEP_2) | instskip(SKIP_1) | instid1(VALU_DEP_1)
	v_add_nc_u32_e32 v8, 1, v4
	s_wait_alu 0xfffd
	v_dual_cndmask_b32 v7, v4, v8 :: v_dual_mov_b32 v8, v3
.LBB0_6:                                ;   in Loop: Header=BB0_2 Depth=1
	s_wait_alu 0xfffe
	s_or_b32 exec_lo, exec_lo, s2
	s_load_b64 s[20:21], s[12:13], 0x0
	s_delay_alu instid0(VALU_DEP_1)
	v_mul_lo_u32 v4, v8, s18
	v_mul_lo_u32 v11, v7, s19
	v_mad_co_u64_u32 v[9:10], null, v7, s18, 0
	s_add_nc_u64 s[14:15], s[14:15], 1
	s_add_nc_u64 s[12:13], s[12:13], 8
	s_wait_alu 0xfffe
	v_cmp_ge_u64_e64 s2, s[14:15], s[6:7]
	s_add_nc_u64 s[16:17], s[16:17], 8
	s_delay_alu instid0(VALU_DEP_2) | instskip(NEXT) | instid1(VALU_DEP_3)
	v_add3_u32 v4, v10, v11, v4
	v_sub_co_u32 v5, vcc_lo, v5, v9
	s_wait_alu 0xfffd
	s_delay_alu instid0(VALU_DEP_2) | instskip(SKIP_3) | instid1(VALU_DEP_2)
	v_sub_co_ci_u32_e32 v4, vcc_lo, v6, v4, vcc_lo
	s_and_b32 vcc_lo, exec_lo, s2
	s_wait_kmcnt 0x0
	v_mul_lo_u32 v6, s21, v5
	v_mul_lo_u32 v4, s20, v4
	v_mad_co_u64_u32 v[1:2], null, s20, v5, v[1:2]
	s_delay_alu instid0(VALU_DEP_1)
	v_add3_u32 v2, v6, v2, v4
	s_wait_alu 0xfffe
	s_cbranch_vccnz .LBB0_9
; %bb.7:                                ;   in Loop: Header=BB0_2 Depth=1
	v_dual_mov_b32 v5, v7 :: v_dual_mov_b32 v6, v8
	s_branch .LBB0_2
.LBB0_8:
	v_dual_mov_b32 v8, v6 :: v_dual_mov_b32 v7, v5
.LBB0_9:
	s_lshl_b64 s[2:3], s[6:7], 3
	v_mul_hi_u32 v3, 0x4104105, v0
	s_wait_alu 0xfffe
	s_add_nc_u64 s[2:3], s[10:11], s[2:3]
	s_load_b64 s[0:1], s[0:1], 0x20
	s_load_b64 s[2:3], s[2:3], 0x0
	s_delay_alu instid0(VALU_DEP_1) | instskip(NEXT) | instid1(VALU_DEP_1)
	v_mul_u32_u24_e32 v3, 63, v3
	v_sub_nc_u32_e32 v20, v0, v3
	s_delay_alu instid0(VALU_DEP_1)
	v_add_nc_u32_e32 v27, 63, v20
	v_add_nc_u32_e32 v24, 0x7e, v20
	;; [unrolled: 1-line block ×3, first 2 shown]
	s_wait_kmcnt 0x0
	v_cmp_gt_u64_e32 vcc_lo, s[0:1], v[7:8]
	v_mul_lo_u32 v3, s2, v8
	v_mul_lo_u32 v4, s3, v7
	v_mad_co_u64_u32 v[0:1], null, s2, v7, v[1:2]
	v_cmp_le_u64_e64 s0, s[0:1], v[7:8]
	s_delay_alu instid0(VALU_DEP_2) | instskip(NEXT) | instid1(VALU_DEP_2)
	v_add3_u32 v1, v4, v1, v3
	s_and_saveexec_b32 s1, s0
	s_wait_alu 0xfffe
	s_xor_b32 s0, exec_lo, s1
; %bb.10:
	v_add_nc_u32_e32 v27, 63, v20
	v_add_nc_u32_e32 v24, 0x7e, v20
	;; [unrolled: 1-line block ×3, first 2 shown]
; %bb.11:
	s_wait_alu 0xfffe
	s_or_saveexec_b32 s1, s0
	v_lshlrev_b64_e32 v[22:23], 3, v[0:1]
	v_lshl_add_u32 v38, v20, 3, 0
	s_wait_alu 0xfffe
	s_xor_b32 exec_lo, exec_lo, s1
	s_cbranch_execz .LBB0_13
; %bb.12:
	s_delay_alu instid0(VALU_DEP_1) | instskip(SKIP_3) | instid1(VALU_DEP_3)
	v_dual_mov_b32 v21, 0 :: v_dual_add_nc_u32 v28, 0xc00, v38
	v_add_co_u32 v2, s0, s8, v22
	s_wait_alu 0xf1ff
	v_add_co_ci_u32_e64 v3, s0, s9, v23, s0
	v_lshlrev_b64_e32 v[0:1], 3, v[20:21]
	v_add_nc_u32_e32 v21, 0x400, v38
	v_add_nc_u32_e32 v25, 0x800, v38
	s_delay_alu instid0(VALU_DEP_3) | instskip(SKIP_1) | instid1(VALU_DEP_4)
	v_add_co_u32 v0, s0, v2, v0
	s_wait_alu 0xf1ff
	v_add_co_ci_u32_e64 v1, s0, v3, v1, s0
	s_clause 0x9
	global_load_b64 v[2:3], v[0:1], off
	global_load_b64 v[4:5], v[0:1], off offset:504
	global_load_b64 v[6:7], v[0:1], off offset:1008
	;; [unrolled: 1-line block ×9, first 2 shown]
	s_wait_loadcnt 0x8
	ds_store_2addr_b64 v38, v[2:3], v[4:5] offset1:63
	s_wait_loadcnt 0x6
	ds_store_2addr_b64 v38, v[6:7], v[8:9] offset0:126 offset1:189
	s_wait_loadcnt 0x4
	ds_store_2addr_b64 v21, v[10:11], v[12:13] offset0:124 offset1:187
	;; [unrolled: 2-line block ×4, first 2 shown]
.LBB0_13:
	s_or_b32 exec_lo, exec_lo, s1
	v_add_nc_u32_e32 v0, 0x400, v38
	v_add_nc_u32_e32 v8, 0x800, v38
	global_wb scope:SCOPE_SE
	s_wait_dscnt 0x0
	s_barrier_signal -1
	s_barrier_wait -1
	global_inv scope:SCOPE_SE
	ds_load_2addr_b64 v[4:7], v38 offset1:63
	ds_load_2addr_b64 v[9:12], v0 offset0:82 offset1:145
	ds_load_2addr_b64 v[13:16], v8 offset0:164 offset1:227
	v_add_nc_u32_e32 v17, 0x1000, v38
	v_cmp_gt_u32_e64 s0, 21, v20
	s_wait_dscnt 0x0
	v_dual_add_f32 v37, v6, v11 :: v_dual_add_f32 v18, v9, v13
	ds_load_2addr_b64 v[0:3], v38 offset0:126 offset1:189
	ds_load_2addr_b64 v[28:31], v8 offset0:80 offset1:143
	;; [unrolled: 1-line block ×3, first 2 shown]
	v_dual_add_f32 v21, v5, v10 :: v_dual_sub_f32 v40, v12, v16
	v_add_f32_e32 v25, v10, v14
	v_add_f32_e32 v39, v11, v15
	;; [unrolled: 1-line block ×3, first 2 shown]
	v_dual_sub_f32 v19, v10, v14 :: v_dual_sub_f32 v36, v9, v13
	v_sub_f32_e32 v42, v11, v15
	v_fma_f32 v4, -0.5, v18, v4
	s_delay_alu instid0(VALU_DEP_4)
	v_add_f32_e32 v9, v17, v13
	v_add_f32_e32 v41, v7, v12
	;; [unrolled: 1-line block ×4, first 2 shown]
	v_fma_f32 v5, -0.5, v25, v5
	v_add_f32_e32 v11, v37, v15
	v_fma_f32 v6, -0.5, v39, v6
	v_fmac_f32_e32 v7, -0.5, v12
	v_fmamk_f32 v13, v19, 0x3f5db3d7, v4
	v_fmac_f32_e32 v4, 0xbf5db3d7, v19
	v_add_f32_e32 v12, v41, v16
	s_wait_dscnt 0x0
	v_add_f32_e32 v15, v28, v32
	v_fmamk_f32 v14, v36, 0xbf5db3d7, v5
	v_dual_fmac_f32 v5, 0x3f5db3d7, v36 :: v_dual_fmamk_f32 v18, v40, 0x3f5db3d7, v6
	v_add_f32_e32 v16, v0, v28
	s_delay_alu instid0(VALU_DEP_4)
	v_fma_f32 v36, -0.5, v15, v0
	v_sub_f32_e32 v0, v29, v33
	v_add_f32_e32 v17, v29, v33
	v_dual_add_f32 v15, v1, v29 :: v_dual_fmac_f32 v6, 0xbf5db3d7, v40
	v_fmamk_f32 v19, v42, 0xbf5db3d7, v7
	v_fmac_f32_e32 v7, 0x3f5db3d7, v42
	s_delay_alu instid0(VALU_DEP_4)
	v_fma_f32 v37, -0.5, v17, v1
	v_sub_f32_e32 v1, v28, v32
	v_fmamk_f32 v28, v0, 0x3f5db3d7, v36
	v_fmac_f32_e32 v36, 0xbf5db3d7, v0
	v_dual_add_f32 v39, v16, v32 :: v_dual_add_f32 v40, v15, v33
	v_add_f32_e32 v0, v30, v34
	v_add_f32_e32 v15, v2, v30
	v_sub_f32_e32 v17, v31, v35
	v_add_f32_e32 v21, v3, v31
	v_sub_f32_e32 v25, v30, v34
	v_fma_f32 v2, -0.5, v0, v2
	v_dual_add_f32 v16, v15, v34 :: v_dual_fmamk_f32 v29, v1, 0xbf5db3d7, v37
	v_fmac_f32_e32 v37, 0x3f5db3d7, v1
	s_delay_alu instid0(VALU_DEP_3) | instskip(SKIP_2) | instid1(VALU_DEP_3)
	v_dual_add_f32 v1, v31, v35 :: v_dual_fmamk_f32 v0, v17, 0x3f5db3d7, v2
	v_dual_fmac_f32 v2, 0xbf5db3d7, v17 :: v_dual_add_f32 v17, v21, v35
	v_lshl_add_u32 v15, v20, 4, v38
	v_fmac_f32_e32 v3, -0.5, v1
	v_mad_i32_i24 v32, v24, 24, 0
	global_wb scope:SCOPE_SE
	s_barrier_signal -1
	s_barrier_wait -1
	v_fmamk_f32 v1, v25, 0xbf5db3d7, v3
	v_fmac_f32_e32 v3, 0x3f5db3d7, v25
	v_mad_i32_i24 v25, v27, 24, 0
	global_inv scope:SCOPE_SE
	ds_store_2addr_b64 v15, v[9:10], v[13:14] offset1:1
	ds_store_b64 v15, v[4:5] offset:16
	ds_store_2addr_b64 v25, v[11:12], v[18:19] offset1:1
	ds_store_b64 v25, v[6:7] offset:16
	;; [unrolled: 2-line block ×3, first 2 shown]
	s_and_saveexec_b32 s1, s0
	s_cbranch_execz .LBB0_15
; %bb.14:
	v_mad_i32_i24 v4, v26, 24, 0
	ds_store_2addr_b64 v4, v[16:17], v[0:1] offset1:1
	ds_store_b64 v4, v[2:3] offset:16
.LBB0_15:
	s_wait_alu 0xfffe
	s_or_b32 exec_lo, exec_lo, s1
	v_lshlrev_b32_e32 v34, 4, v27
	v_lshlrev_b32_e32 v36, 4, v24
	global_wb scope:SCOPE_SE
	s_wait_dscnt 0x0
	s_barrier_signal -1
	s_barrier_wait -1
	v_sub_nc_u32_e32 v18, v25, v34
	v_sub_nc_u32_e32 v19, v32, v36
	global_inv scope:SCOPE_SE
	ds_load_2addr_b64 v[4:7], v38 offset1:210
	ds_load_2addr_b64 v[12:15], v8 offset0:164 offset1:227
	ds_load_2addr_b64 v[8:11], v8 offset0:17 offset1:80
	ds_load_b64 v[28:29], v18
	ds_load_b64 v[18:19], v19
	ds_load_b64 v[30:31], v38 offset:4368
	v_lshl_add_u32 v39, v26, 3, 0
	s_and_saveexec_b32 s1, s0
	s_cbranch_execz .LBB0_17
; %bb.16:
	v_add_nc_u32_e32 v0, 0xc00, v38
	ds_load_2addr_b64 v[0:3], v0 offset0:15 offset1:225
	ds_load_b64 v[16:17], v39
.LBB0_17:
	s_wait_alu 0xfffe
	s_or_b32 exec_lo, exec_lo, s1
	v_and_b32_e32 v33, 0xff, v20
	v_and_b32_e32 v21, 0xff, v27
	;; [unrolled: 1-line block ×3, first 2 shown]
	v_sub_nc_u32_e32 v34, 0, v34
	v_sub_nc_u32_e32 v36, 0, v36
	v_mul_lo_u16 v35, 0xab, v33
	v_mul_lo_u16 v40, 0xab, v21
	;; [unrolled: 1-line block ×3, first 2 shown]
	s_delay_alu instid0(VALU_DEP_3) | instskip(SKIP_1) | instid1(VALU_DEP_4)
	v_lshrrev_b16 v41, 9, v35
	v_and_b32_e32 v35, 0xff, v26
	v_lshrrev_b16 v40, 9, v40
	s_delay_alu instid0(VALU_DEP_4) | instskip(NEXT) | instid1(VALU_DEP_4)
	v_lshrrev_b16 v58, 9, v37
	v_mul_lo_u16 v42, v41, 3
	s_delay_alu instid0(VALU_DEP_4) | instskip(NEXT) | instid1(VALU_DEP_4)
	v_mul_lo_u16 v35, 0xab, v35
	v_mul_lo_u16 v37, v40, 3
	s_delay_alu instid0(VALU_DEP_4)
	v_mul_lo_u16 v43, v58, 3
	v_and_b32_e32 v58, 0xffff, v58
	v_sub_nc_u16 v42, v20, v42
	v_lshrrev_b16 v35, 9, v35
	v_sub_nc_u16 v37, v27, v37
	v_sub_nc_u16 v43, v24, v43
	v_mul_u32_u24_e32 v58, 0x48, v58
	v_and_b32_e32 v59, 0xff, v42
	v_mul_lo_u16 v42, v35, 3
	v_and_b32_e32 v60, 0xff, v37
	v_and_b32_e32 v61, 0xff, v43
	s_delay_alu instid0(VALU_DEP_4) | instskip(NEXT) | instid1(VALU_DEP_4)
	v_lshlrev_b32_e32 v37, 4, v59
	v_sub_nc_u16 v46, v26, v42
	global_load_b128 v[42:45], v37, s[4:5]
	v_lshlrev_b32_e32 v50, 4, v61
	v_lshlrev_b32_e32 v61, 3, v61
	v_and_b32_e32 v37, 0xff, v46
	s_delay_alu instid0(VALU_DEP_2) | instskip(SKIP_1) | instid1(VALU_DEP_2)
	v_add3_u32 v58, 0, v58, v61
	s_wait_loadcnt_dscnt 0x5
	v_dual_mul_f32 v61, v43, v7 :: v_dual_lshlrev_b32 v54, 4, v37
	s_wait_dscnt 0x4
	v_dual_mul_f32 v43, v43, v6 :: v_dual_mul_f32 v62, v45, v13
	v_mul_f32_e32 v45, v45, v12
	s_delay_alu instid0(VALU_DEP_2) | instskip(SKIP_1) | instid1(VALU_DEP_3)
	v_fmac_f32_e32 v43, v42, v7
	v_lshlrev_b32_e32 v47, 4, v60
	v_fmac_f32_e32 v45, v44, v13
	v_fma_f32 v12, v44, v12, -v62
	s_clause 0x2
	global_load_b128 v[46:49], v47, s[4:5]
	global_load_b128 v[50:53], v50, s[4:5]
	;; [unrolled: 1-line block ×3, first 2 shown]
	v_and_b32_e32 v40, 0xffff, v40
	v_lshlrev_b32_e32 v60, 3, v60
	global_wb scope:SCOPE_SE
	s_wait_loadcnt_dscnt 0x0
	s_barrier_signal -1
	s_barrier_wait -1
	global_inv scope:SCOPE_SE
	v_mul_f32_e32 v65, v51, v11
	v_mul_f32_e32 v63, v47, v9
	v_mul_u32_u24_e32 v40, 0x48, v40
	v_dual_mul_f32 v47, v47, v8 :: v_dual_mul_f32 v64, v49, v15
	v_mul_f32_e32 v49, v49, v14
	v_mul_f32_e32 v66, v53, v31
	s_delay_alu instid0(VALU_DEP_4)
	v_add3_u32 v60, 0, v40, v60
	v_mul_f32_e32 v40, v2, v57
	v_fmac_f32_e32 v47, v46, v9
	v_and_b32_e32 v41, 0xffff, v41
	v_fma_f32 v8, v46, v8, -v63
	v_fma_f32 v13, v48, v14, -v64
	;; [unrolled: 1-line block ×3, first 2 shown]
	v_fmac_f32_e32 v40, v3, v56
	v_mul_u32_u24_e32 v41, 0x48, v41
	s_delay_alu instid0(VALU_DEP_4) | instskip(SKIP_3) | instid1(VALU_DEP_4)
	v_dual_sub_f32 v44, v8, v13 :: v_dual_lshlrev_b32 v59, 3, v59
	v_mul_f32_e32 v67, v1, v55
	v_fma_f32 v14, v52, v30, -v66
	v_add_f32_e32 v46, v18, v9
	v_add3_u32 v59, 0, v41, v59
	v_mul_f32_e32 v41, v0, v55
	v_mul_f32_e32 v55, v3, v57
	v_fma_f32 v57, v42, v6, -v61
	v_fma_f32 v7, v0, v54, -v67
	v_add_f32_e32 v42, v29, v47
	v_fmac_f32_e32 v41, v1, v54
	v_mul_f32_e32 v51, v51, v10
	v_fma_f32 v6, v2, v56, -v55
	v_dual_add_f32 v0, v4, v57 :: v_dual_mul_f32 v53, v53, v30
	v_add_f32_e32 v10, v28, v8
	s_delay_alu instid0(VALU_DEP_3)
	v_dual_fmac_f32 v49, v48, v15 :: v_dual_add_f32 v54, v7, v6
	v_dual_sub_f32 v15, v43, v45 :: v_dual_add_f32 v2, v5, v43
	v_dual_add_f32 v3, v43, v45 :: v_dual_add_f32 v56, v41, v40
	v_fmac_f32_e32 v51, v50, v11
	v_add_f32_e32 v11, v8, v13
	v_add_f32_e32 v8, v0, v12
	v_dual_fmac_f32 v53, v52, v31 :: v_dual_add_f32 v10, v10, v13
	v_sub_f32_e32 v31, v47, v49
	v_add_f32_e32 v43, v47, v49
	v_add_f32_e32 v47, v9, v14
	v_sub_f32_e32 v30, v57, v12
	v_fma_f32 v5, -0.5, v3, v5
	v_fma_f32 v28, -0.5, v11, v28
	v_sub_f32_e32 v52, v9, v14
	v_fma_f32 v18, -0.5, v47, v18
	v_dual_add_f32 v1, v57, v12 :: v_dual_add_f32 v12, v46, v14
	v_add_f32_e32 v11, v42, v49
	v_sub_f32_e32 v57, v7, v6
	v_fma_f32 v3, -0.5, v56, v17
	s_delay_alu instid0(VALU_DEP_4) | instskip(SKIP_1) | instid1(VALU_DEP_3)
	v_fma_f32 v4, -0.5, v1, v4
	v_fmac_f32_e32 v29, -0.5, v43
	v_fmamk_f32 v1, v57, 0xbf5db3d7, v3
	s_delay_alu instid0(VALU_DEP_3)
	v_fmamk_f32 v14, v15, 0x3f5db3d7, v4
	v_dual_fmac_f32 v4, 0xbf5db3d7, v15 :: v_dual_fmamk_f32 v15, v30, 0xbf5db3d7, v5
	v_dual_fmac_f32 v5, 0x3f5db3d7, v30 :: v_dual_fmamk_f32 v30, v31, 0x3f5db3d7, v28
	v_sub_f32_e32 v48, v51, v53
	v_dual_add_f32 v50, v19, v51 :: v_dual_add_f32 v9, v2, v45
	v_fma_f32 v2, -0.5, v54, v16
	v_fmac_f32_e32 v28, 0xbf5db3d7, v31
	s_delay_alu instid0(VALU_DEP_4)
	v_fmamk_f32 v42, v48, 0x3f5db3d7, v18
	v_dual_fmac_f32 v18, 0xbf5db3d7, v48 :: v_dual_add_f32 v51, v51, v53
	v_sub_f32_e32 v55, v41, v40
	v_fmac_f32_e32 v3, 0x3f5db3d7, v57
	v_fmamk_f32 v31, v44, 0xbf5db3d7, v29
	v_fmac_f32_e32 v29, 0x3f5db3d7, v44
	s_delay_alu instid0(VALU_DEP_4) | instskip(SKIP_1) | instid1(VALU_DEP_2)
	v_dual_fmac_f32 v19, -0.5, v51 :: v_dual_fmamk_f32 v0, v55, 0x3f5db3d7, v2
	v_dual_fmac_f32 v2, 0xbf5db3d7, v55 :: v_dual_add_f32 v13, v50, v53
	v_fmamk_f32 v43, v52, 0xbf5db3d7, v19
	v_fmac_f32_e32 v19, 0x3f5db3d7, v52
	ds_store_2addr_b64 v59, v[8:9], v[14:15] offset1:3
	ds_store_b64 v59, v[4:5] offset:48
	ds_store_2addr_b64 v60, v[10:11], v[30:31] offset1:3
	ds_store_b64 v60, v[28:29] offset:48
	;; [unrolled: 2-line block ×3, first 2 shown]
	s_and_saveexec_b32 s1, s0
	s_cbranch_execz .LBB0_19
; %bb.18:
	v_dual_add_f32 v5, v17, v41 :: v_dual_and_b32 v4, 0xffff, v35
	v_dual_add_f32 v7, v16, v7 :: v_dual_lshlrev_b32 v8, 3, v37
	s_delay_alu instid0(VALU_DEP_2) | instskip(NEXT) | instid1(VALU_DEP_2)
	v_mul_u32_u24_e32 v9, 0x48, v4
	v_dual_add_f32 v5, v5, v40 :: v_dual_add_f32 v4, v7, v6
	s_delay_alu instid0(VALU_DEP_2)
	v_add3_u32 v6, 0, v9, v8
	ds_store_2addr_b64 v6, v[4:5], v[0:1] offset1:3
	ds_store_b64 v6, v[2:3] offset:48
.LBB0_19:
	s_wait_alu 0xfffe
	s_or_b32 exec_lo, exec_lo, s1
	v_mul_lo_u16 v4, v33, 57
	global_wb scope:SCOPE_SE
	s_wait_dscnt 0x0
	s_barrier_signal -1
	s_barrier_wait -1
	global_inv scope:SCOPE_SE
	v_lshrrev_b16 v28, 9, v4
	v_mul_lo_u16 v4, v21, 57
	v_add_nc_u32_e32 v41, v25, v34
	v_cmp_gt_u32_e64 s0, 27, v20
	s_delay_alu instid0(VALU_DEP_4) | instskip(NEXT) | instid1(VALU_DEP_4)
	v_mul_lo_u16 v5, v28, 9
	v_lshrrev_b16 v29, 9, v4
	s_delay_alu instid0(VALU_DEP_2) | instskip(NEXT) | instid1(VALU_DEP_2)
	v_sub_nc_u16 v4, v20, v5
	v_mul_lo_u16 v5, v29, 9
	s_delay_alu instid0(VALU_DEP_2) | instskip(NEXT) | instid1(VALU_DEP_2)
	v_and_b32_e32 v54, 0xff, v4
	v_sub_nc_u16 v4, v27, v5
	s_delay_alu instid0(VALU_DEP_2) | instskip(NEXT) | instid1(VALU_DEP_2)
	v_lshlrev_b32_e32 v5, 5, v54
	v_and_b32_e32 v55, 0xff, v4
	global_load_b128 v[6:9], v5, s[4:5] offset:48
	v_lshlrev_b32_e32 v4, 5, v55
	v_add_nc_u32_e32 v40, v32, v36
	s_clause 0x2
	global_load_b128 v[10:13], v5, s[4:5] offset:64
	global_load_b128 v[14:17], v4, s[4:5] offset:48
	;; [unrolled: 1-line block ×3, first 2 shown]
	v_add_nc_u32_e32 v4, 0x400, v38
	v_add_nc_u32_e32 v5, 0x800, v38
	;; [unrolled: 1-line block ×3, first 2 shown]
	ds_load_b64 v[18:19], v40
	ds_load_2addr_b64 v[30:33], v4 offset0:124 offset1:187
	ds_load_2addr_b64 v[34:37], v5 offset0:122 offset1:185
	;; [unrolled: 1-line block ×3, first 2 shown]
	v_and_b32_e32 v25, 0xffff, v28
	v_and_b32_e32 v56, 0xffff, v29
	ds_load_2addr_b64 v[50:53], v38 offset1:189
	ds_load_b64 v[28:29], v41
	v_lshlrev_b32_e32 v54, 3, v54
	global_wb scope:SCOPE_SE
	s_wait_loadcnt_dscnt 0x0
	s_barrier_signal -1
	s_barrier_wait -1
	global_inv scope:SCOPE_SE
	v_mul_f32_e32 v57, v11, v35
	v_mul_f32_e32 v11, v11, v34
	v_mul_u32_u24_e32 v56, 0x168, v56
	v_mul_f32_e32 v58, v13, v47
	v_dual_mul_f32 v62, v49, v45 :: v_dual_lshlrev_b32 v55, 3, v55
	v_mul_u32_u24_e32 v25, 0x168, v25
	v_mul_f32_e32 v59, v13, v46
	v_mul_f32_e32 v13, v15, v53
	v_dual_mul_f32 v15, v15, v52 :: v_dual_mul_f32 v60, v33, v17
	s_delay_alu instid0(VALU_DEP_4)
	v_add3_u32 v25, 0, v25, v54
	v_add3_u32 v54, 0, v56, v55
	v_mul_f32_e32 v55, v7, v19
	v_dual_mul_f32 v7, v7, v18 :: v_dual_mul_f32 v56, v9, v31
	v_mul_f32_e32 v9, v9, v30
	v_fmac_f32_e32 v11, v10, v35
	s_delay_alu instid0(VALU_DEP_4) | instskip(NEXT) | instid1(VALU_DEP_4)
	v_fma_f32 v18, v6, v18, -v55
	v_fmac_f32_e32 v7, v6, v19
	v_fma_f32 v6, v8, v30, -v56
	v_mul_f32_e32 v61, v37, v43
	v_fma_f32 v19, v10, v34, -v57
	v_fma_f32 v10, v32, v16, -v60
	v_fmac_f32_e32 v9, v8, v31
	v_fma_f32 v8, v14, v52, -v13
	v_mul_f32_e32 v17, v32, v17
	v_fma_f32 v34, v12, v46, -v58
	v_mul_f32_e32 v43, v36, v43
	v_fmac_f32_e32 v15, v14, v53
	v_sub_f32_e32 v32, v6, v18
	v_fma_f32 v14, v36, v42, -v61
	v_sub_f32_e32 v60, v8, v10
	v_mul_f32_e32 v45, v48, v45
	v_dual_fmac_f32 v17, v33, v16 :: v_dual_sub_f32 v46, v6, v19
	v_fma_f32 v35, v48, v44, -v62
	v_sub_f32_e32 v16, v18, v6
	v_sub_f32_e32 v30, v34, v19
	v_dual_fmac_f32 v59, v12, v47 :: v_dual_sub_f32 v68, v10, v14
	v_add_f32_e32 v12, v50, v18
	v_add_f32_e32 v56, v10, v14
	v_dual_add_f32 v31, v18, v34 :: v_dual_sub_f32 v52, v9, v7
	v_sub_f32_e32 v18, v18, v34
	v_dual_fmac_f32 v43, v37, v42 :: v_dual_add_f32 v42, v51, v7
	v_dual_fmac_f32 v45, v49, v44 :: v_dual_add_f32 v62, v8, v35
	v_dual_add_f32 v13, v6, v19 :: v_dual_add_f32 v12, v12, v6
	v_sub_f32_e32 v36, v7, v59
	s_delay_alu instid0(VALU_DEP_3)
	v_sub_f32_e32 v72, v43, v45
	v_sub_f32_e32 v48, v59, v11
	v_dual_sub_f32 v33, v19, v34 :: v_dual_sub_f32 v58, v17, v43
	v_dual_add_f32 v55, v28, v8 :: v_dual_add_f32 v66, v17, v43
	v_fma_f32 v6, -0.5, v13, v50
	v_sub_f32_e32 v37, v9, v11
	v_dual_add_f32 v44, v9, v11 :: v_dual_sub_f32 v47, v7, v9
	v_dual_sub_f32 v64, v14, v35 :: v_dual_sub_f32 v57, v15, v45
	v_dual_sub_f32 v70, v45, v43 :: v_dual_sub_f32 v61, v35, v14
	v_sub_f32_e32 v63, v10, v8
	v_add_f32_e32 v73, v16, v30
	v_dual_add_f32 v16, v55, v10 :: v_dual_sub_f32 v67, v8, v35
	v_fma_f32 v8, -0.5, v31, v50
	v_add_f32_e32 v50, v32, v33
	v_fma_f32 v32, -0.5, v56, v28
	v_fma_f32 v28, -0.5, v62, v28
	v_dual_sub_f32 v53, v11, v59 :: v_dual_fmamk_f32 v10, v36, 0x3f737871, v6
	v_add_f32_e32 v49, v7, v59
	v_add_f32_e32 v65, v29, v15
	v_dual_add_f32 v13, v42, v9 :: v_dual_add_f32 v42, v47, v48
	v_dual_fmac_f32 v6, 0xbf737871, v36 :: v_dual_add_f32 v47, v60, v61
	v_fmamk_f32 v30, v58, 0xbf737871, v28
	v_dual_fmac_f32 v28, 0x3f737871, v58 :: v_dual_add_f32 v71, v15, v45
	v_sub_f32_e32 v69, v15, v17
	v_sub_f32_e32 v15, v17, v15
	v_fma_f32 v7, -0.5, v44, v51
	v_add_f32_e32 v44, v52, v53
	v_fma_f32 v9, -0.5, v49, v51
	v_dual_add_f32 v19, v12, v19 :: v_dual_fmamk_f32 v12, v37, 0xbf737871, v8
	v_fmac_f32_e32 v8, 0x3f737871, v37
	v_fma_f32 v33, -0.5, v66, v29
	v_add_f32_e32 v52, v13, v11
	v_dual_fmac_f32 v29, -0.5, v71 :: v_dual_fmac_f32 v10, 0x3f167918, v37
	v_fmamk_f32 v13, v46, 0x3f737871, v9
	v_fmac_f32_e32 v9, 0xbf737871, v46
	v_dual_add_f32 v53, v16, v14 :: v_dual_fmac_f32 v8, 0xbf167918, v36
	v_fmamk_f32 v11, v18, 0xbf737871, v7
	v_dual_fmac_f32 v12, 0x3f167918, v36 :: v_dual_add_f32 v17, v65, v17
	v_add_f32_e32 v16, v19, v34
	v_dual_fmac_f32 v7, 0x3f737871, v18 :: v_dual_add_f32 v48, v63, v64
	v_add_f32_e32 v49, v69, v70
	v_dual_add_f32 v51, v15, v72 :: v_dual_fmac_f32 v6, 0xbf167918, v37
	v_fmamk_f32 v14, v57, 0x3f737871, v32
	v_dual_fmac_f32 v32, 0xbf737871, v57 :: v_dual_fmamk_f32 v15, v67, 0xbf737871, v33
	v_fmamk_f32 v31, v68, 0x3f737871, v29
	v_fmac_f32_e32 v29, 0xbf737871, v68
	v_fmac_f32_e32 v33, 0x3f737871, v67
	;; [unrolled: 1-line block ×3, first 2 shown]
	v_dual_fmac_f32 v9, 0x3f167918, v18 :: v_dual_add_f32 v18, v53, v35
	v_dual_fmac_f32 v11, 0xbf167918, v46 :: v_dual_fmac_f32 v28, 0xbf167918, v57
	v_dual_add_f32 v43, v17, v43 :: v_dual_fmac_f32 v14, 0x3f167918, v58
	v_dual_fmac_f32 v7, 0x3f167918, v46 :: v_dual_fmac_f32 v30, 0x3f167918, v57
	v_dual_add_f32 v17, v52, v59 :: v_dual_fmac_f32 v32, 0xbf167918, v58
	v_fmac_f32_e32 v15, 0xbf167918, v68
	v_fmac_f32_e32 v31, 0xbf167918, v67
	;; [unrolled: 1-line block ×4, first 2 shown]
	v_dual_fmac_f32 v10, 0x3e9e377a, v73 :: v_dual_fmac_f32 v11, 0x3e9e377a, v42
	v_dual_add_f32 v19, v43, v45 :: v_dual_fmac_f32 v12, 0x3e9e377a, v50
	v_dual_fmac_f32 v8, 0x3e9e377a, v50 :: v_dual_fmac_f32 v13, 0x3e9e377a, v44
	v_dual_fmac_f32 v9, 0x3e9e377a, v44 :: v_dual_fmac_f32 v14, 0x3e9e377a, v47
	;; [unrolled: 1-line block ×6, first 2 shown]
	v_fmac_f32_e32 v29, 0x3e9e377a, v51
	ds_store_2addr_b64 v25, v[16:17], v[10:11] offset1:9
	ds_store_2addr_b64 v25, v[12:13], v[8:9] offset0:18 offset1:27
	ds_store_b64 v25, v[6:7] offset:288
	ds_store_2addr_b64 v54, v[18:19], v[14:15] offset1:9
	ds_store_2addr_b64 v54, v[30:31], v[28:29] offset0:18 offset1:27
	ds_store_b64 v54, v[32:33] offset:288
	global_wb scope:SCOPE_SE
	s_wait_dscnt 0x0
	s_barrier_signal -1
	s_barrier_wait -1
	global_inv scope:SCOPE_SE
	ds_load_2addr_b64 v[8:11], v38 offset1:90
	ds_load_2addr_b64 v[16:19], v4 offset0:52 offset1:142
	ds_load_2addr_b64 v[12:15], v5 offset0:104 offset1:194
	ds_load_b64 v[36:37], v38 offset:4320
                                        ; implicit-def: $vgpr7
	s_and_saveexec_b32 s1, s0
	s_cbranch_execz .LBB0_21
; %bb.20:
	v_add_nc_u32_e32 v6, 0x1000, v38
	ds_load_b64 v[30:31], v41
	ds_load_b64 v[28:29], v38 offset:1224
	ds_load_2addr_b32 v[32:33], v4 offset0:230 offset1:231
	ds_load_2addr_b64 v[0:3], v5 offset0:77 offset1:167
	ds_load_2addr_b64 v[4:7], v6 offset0:1 offset1:91
.LBB0_21:
	s_wait_alu 0xfffe
	s_or_b32 exec_lo, exec_lo, s1
	v_subrev_nc_u32_e32 v25, 45, v20
	v_cmp_gt_u32_e64 s1, 45, v20
	v_mov_b32_e32 v35, 0
	s_wait_alu 0xf1ff
	s_delay_alu instid0(VALU_DEP_2) | instskip(NEXT) | instid1(VALU_DEP_1)
	v_cndmask_b32_e64 v25, v25, v20, s1
	v_mul_i32_i24_e32 v34, 6, v25
	s_delay_alu instid0(VALU_DEP_1) | instskip(NEXT) | instid1(VALU_DEP_1)
	v_lshlrev_b64_e32 v[42:43], 3, v[34:35]
	v_add_co_u32 v50, s1, s4, v42
	s_wait_alu 0xf1ff
	s_delay_alu instid0(VALU_DEP_2)
	v_add_co_ci_u32_e64 v51, s1, s5, v43, s1
	v_cmp_lt_u32_e64 s1, 44, v20
	s_clause 0x2
	global_load_b128 v[42:45], v[50:51], off offset:336
	global_load_b128 v[46:49], v[50:51], off offset:352
	;; [unrolled: 1-line block ×3, first 2 shown]
	global_wb scope:SCOPE_SE
	s_wait_loadcnt_dscnt 0x0
	s_wait_alu 0xf1ff
	v_cndmask_b32_e64 v34, 0, 0x9d8, s1
	s_barrier_signal -1
	s_barrier_wait -1
	global_inv scope:SCOPE_SE
	v_dual_mul_f32 v54, v45, v17 :: v_dual_mul_f32 v55, v47, v19
	v_mul_f32_e32 v56, v49, v13
	v_mul_f32_e32 v49, v49, v12
	v_dual_mul_f32 v47, v47, v18 :: v_dual_mul_f32 v58, v53, v37
	s_delay_alu instid0(VALU_DEP_3) | instskip(SKIP_1) | instid1(VALU_DEP_3)
	v_fma_f32 v12, v48, v12, -v56
	v_lshlrev_b32_e32 v25, 3, v25
	v_fmac_f32_e32 v47, v46, v19
	v_fmac_f32_e32 v49, v48, v13
	s_delay_alu instid0(VALU_DEP_3) | instskip(SKIP_2) | instid1(VALU_DEP_2)
	v_add3_u32 v25, 0, v34, v25
	v_mul_f32_e32 v34, v43, v11
	v_mul_f32_e32 v43, v43, v10
	v_fma_f32 v10, v42, v10, -v34
	v_mul_f32_e32 v45, v45, v16
	s_delay_alu instid0(VALU_DEP_3)
	v_fmac_f32_e32 v43, v42, v11
	v_fma_f32 v11, v44, v16, -v54
	v_fma_f32 v16, v46, v18, -v55
	v_mul_f32_e32 v57, v51, v15
	v_mul_f32_e32 v51, v51, v14
	v_fmac_f32_e32 v45, v44, v17
	v_fma_f32 v17, v52, v36, -v58
	v_add_f32_e32 v34, v16, v12
	v_sub_f32_e32 v12, v12, v16
	v_fma_f32 v13, v50, v14, -v57
	v_mul_f32_e32 v53, v53, v36
	v_sub_f32_e32 v16, v49, v47
	v_fmac_f32_e32 v51, v50, v15
	v_add_f32_e32 v14, v10, v17
	v_add_f32_e32 v18, v11, v13
	v_add_f32_e32 v36, v47, v49
	s_delay_alu instid0(VALU_DEP_4) | instskip(SKIP_1) | instid1(VALU_DEP_4)
	v_dual_sub_f32 v10, v10, v17 :: v_dual_add_f32 v19, v45, v51
	v_fmac_f32_e32 v53, v52, v37
	v_add_f32_e32 v37, v18, v14
	s_delay_alu instid0(VALU_DEP_2) | instskip(NEXT) | instid1(VALU_DEP_1)
	v_add_f32_e32 v15, v43, v53
	v_sub_f32_e32 v44, v19, v15
	v_sub_f32_e32 v17, v43, v53
	;; [unrolled: 1-line block ×6, first 2 shown]
	v_add_f32_e32 v34, v34, v37
	v_add_f32_e32 v42, v19, v15
	v_sub_f32_e32 v13, v45, v51
	v_dual_sub_f32 v19, v36, v19 :: v_dual_mul_f32 v14, 0x3f4a47b2, v14
	v_add_f32_e32 v45, v12, v11
	v_sub_f32_e32 v15, v15, v36
	v_dual_sub_f32 v47, v12, v11 :: v_dual_add_f32 v8, v34, v8
	v_sub_f32_e32 v12, v10, v12
	v_add_f32_e32 v36, v36, v42
	v_add_f32_e32 v46, v16, v13
	v_sub_f32_e32 v48, v16, v13
	v_sub_f32_e32 v16, v17, v16
	;; [unrolled: 1-line block ×4, first 2 shown]
	v_mul_f32_e32 v37, 0x3d64c772, v18
	v_add_f32_e32 v9, v36, v9
	v_dual_add_f32 v17, v46, v17 :: v_dual_mul_f32 v46, 0xbf08b237, v48
	v_mul_f32_e32 v48, 0x3f5ff5aa, v13
	v_dual_add_f32 v10, v45, v10 :: v_dual_mul_f32 v45, 0xbf08b237, v47
	v_fmamk_f32 v18, v18, 0x3d64c772, v14
	v_mul_f32_e32 v47, 0x3f5ff5aa, v11
	v_fma_f32 v37, 0x3f3bfb3b, v43, -v37
	v_fma_f32 v14, 0xbf3bfb3b, v43, -v14
	v_fmamk_f32 v43, v12, 0x3eae86e6, v45
	v_fma_f32 v45, 0x3f5ff5aa, v11, -v45
	v_fmamk_f32 v11, v34, 0xbf955555, v8
	v_mul_f32_e32 v42, 0x3d64c772, v19
	v_fma_f32 v47, 0xbeae86e6, v12, -v47
	v_fma_f32 v48, 0xbeae86e6, v16, -v48
	s_delay_alu instid0(VALU_DEP_4) | instskip(SKIP_2) | instid1(VALU_DEP_2)
	v_add_f32_e32 v34, v18, v11
	v_mul_f32_e32 v15, 0x3f4a47b2, v15
	v_fma_f32 v42, 0x3f3bfb3b, v44, -v42
	v_dual_add_f32 v18, v14, v11 :: v_dual_fmamk_f32 v19, v19, 0x3d64c772, v15
	v_fma_f32 v15, 0xbf3bfb3b, v44, -v15
	v_fmamk_f32 v44, v16, 0x3eae86e6, v46
	v_fma_f32 v46, 0x3f5ff5aa, v13, -v46
	v_add_f32_e32 v16, v37, v11
	v_fmamk_f32 v12, v36, 0xbf955555, v9
	s_delay_alu instid0(VALU_DEP_4) | instskip(NEXT) | instid1(VALU_DEP_4)
	v_dual_fmac_f32 v45, 0x3ee1c552, v10 :: v_dual_fmac_f32 v44, 0x3ee1c552, v17
	v_dual_fmac_f32 v46, 0x3ee1c552, v17 :: v_dual_fmac_f32 v47, 0x3ee1c552, v10
	s_delay_alu instid0(VALU_DEP_3) | instskip(NEXT) | instid1(VALU_DEP_2)
	v_dual_fmac_f32 v48, 0x3ee1c552, v17 :: v_dual_add_f32 v49, v19, v12
	v_dual_add_f32 v19, v15, v12 :: v_dual_sub_f32 v14, v16, v46
	v_dual_add_f32 v16, v46, v16 :: v_dual_fmac_f32 v43, 0x3ee1c552, v10
	v_dual_add_f32 v17, v42, v12 :: v_dual_add_f32 v10, v44, v34
	s_delay_alu instid0(VALU_DEP_3) | instskip(NEXT) | instid1(VALU_DEP_3)
	v_dual_add_f32 v12, v48, v18 :: v_dual_sub_f32 v13, v19, v47
	v_dual_sub_f32 v36, v34, v44 :: v_dual_sub_f32 v11, v49, v43
	s_delay_alu instid0(VALU_DEP_3)
	v_dual_sub_f32 v18, v18, v48 :: v_dual_add_f32 v15, v45, v17
	v_sub_f32_e32 v17, v17, v45
	v_add_f32_e32 v19, v47, v19
	v_add_f32_e32 v37, v43, v49
	ds_store_2addr_b64 v25, v[8:9], v[10:11] offset1:45
	ds_store_2addr_b64 v25, v[12:13], v[14:15] offset0:90 offset1:135
	ds_store_2addr_b64 v25, v[16:17], v[18:19] offset0:180 offset1:225
	ds_store_b64 v25, v[36:37] offset:2160
	s_and_saveexec_b32 s1, s0
	s_cbranch_execz .LBB0_23
; %bb.22:
	v_mul_lo_u16 v8, 0x6d, v21
	s_delay_alu instid0(VALU_DEP_1) | instskip(NEXT) | instid1(VALU_DEP_1)
	v_lshrrev_b16 v8, 8, v8
	v_sub_nc_u16 v9, v27, v8
	s_delay_alu instid0(VALU_DEP_1) | instskip(NEXT) | instid1(VALU_DEP_1)
	v_lshrrev_b16 v9, 1, v9
	v_and_b32_e32 v9, 0x7f, v9
	s_delay_alu instid0(VALU_DEP_1) | instskip(NEXT) | instid1(VALU_DEP_1)
	v_add_nc_u16 v8, v9, v8
	v_lshrrev_b16 v8, 5, v8
	s_delay_alu instid0(VALU_DEP_1) | instskip(NEXT) | instid1(VALU_DEP_1)
	v_mul_lo_u16 v8, v8, 45
	v_sub_nc_u16 v8, v27, v8
	s_delay_alu instid0(VALU_DEP_1) | instskip(NEXT) | instid1(VALU_DEP_1)
	v_and_b32_e32 v21, 0xff, v8
	v_mul_u32_u24_e32 v8, 6, v21
	s_delay_alu instid0(VALU_DEP_1)
	v_lshlrev_b32_e32 v16, 3, v8
	s_clause 0x2
	global_load_b128 v[8:11], v16, s[4:5] offset:336
	global_load_b128 v[12:15], v16, s[4:5] offset:368
	;; [unrolled: 1-line block ×3, first 2 shown]
	s_wait_loadcnt 0x1
	v_dual_mul_f32 v36, v29, v9 :: v_dual_mul_f32 v37, v7, v15
	v_lshl_add_u32 v21, v21, 3, 0
	s_wait_loadcnt 0x0
	v_mul_f32_e32 v42, v3, v19
	v_mul_f32_e32 v44, v33, v11
	v_mul_f32_e32 v11, v32, v11
	v_mul_f32_e32 v15, v6, v15
	v_add_nc_u32_e32 v25, 0x800, v21
	v_add_nc_u32_e32 v34, 0xc00, v21
	v_fma_f32 v6, v6, v14, -v37
	v_fmac_f32_e32 v11, v33, v10
	v_mul_f32_e32 v19, v2, v19
	v_fma_f32 v32, v32, v10, -v44
	v_fmac_f32_e32 v15, v7, v14
	v_fma_f32 v2, v2, v18, -v42
	s_delay_alu instid0(VALU_DEP_4) | instskip(SKIP_3) | instid1(VALU_DEP_3)
	v_fmac_f32_e32 v19, v3, v18
	v_mul_f32_e32 v9, v28, v9
	v_fma_f32 v28, v28, v8, -v36
	v_mul_f32_e32 v43, v1, v17
	v_fmac_f32_e32 v9, v29, v8
	v_mul_f32_e32 v17, v0, v17
	s_delay_alu instid0(VALU_DEP_1) | instskip(SKIP_4) | instid1(VALU_DEP_2)
	v_fmac_f32_e32 v17, v1, v16
	v_sub_f32_e32 v1, v28, v6
	v_add_f32_e32 v6, v28, v6
	v_fma_f32 v0, v0, v16, -v43
	v_mul_f32_e32 v45, v5, v13
	v_sub_f32_e32 v3, v2, v0
	v_mul_f32_e32 v13, v4, v13
	v_add_f32_e32 v0, v0, v2
	s_delay_alu instid0(VALU_DEP_4) | instskip(NEXT) | instid1(VALU_DEP_1)
	v_fma_f32 v4, v4, v12, -v45
	v_add_f32_e32 v2, v32, v4
	s_delay_alu instid0(VALU_DEP_4) | instskip(NEXT) | instid1(VALU_DEP_2)
	v_fmac_f32_e32 v13, v5, v12
	v_dual_add_f32 v7, v9, v15 :: v_dual_sub_f32 v18, v0, v2
	s_delay_alu instid0(VALU_DEP_2) | instskip(NEXT) | instid1(VALU_DEP_1)
	v_dual_add_f32 v10, v11, v13 :: v_dual_sub_f32 v5, v32, v4
	v_add_f32_e32 v16, v10, v7
	v_dual_sub_f32 v4, v9, v15 :: v_dual_sub_f32 v9, v19, v17
	s_delay_alu instid0(VALU_DEP_1) | instskip(SKIP_3) | instid1(VALU_DEP_2)
	v_sub_f32_e32 v28, v4, v9
	v_dual_add_f32 v8, v17, v19 :: v_dual_add_f32 v19, v2, v6
	v_dual_sub_f32 v2, v2, v6 :: v_dual_sub_f32 v11, v11, v13
	v_sub_f32_e32 v17, v6, v0
	v_dual_sub_f32 v14, v7, v8 :: v_dual_sub_f32 v29, v9, v11
	v_dual_add_f32 v9, v9, v11 :: v_dual_sub_f32 v6, v11, v4
	s_delay_alu instid0(VALU_DEP_2)
	v_dual_mul_f32 v11, 0x3f4a47b2, v14 :: v_dual_mul_f32 v14, 0x3f4a47b2, v17
	v_sub_f32_e32 v12, v1, v3
	v_add_f32_e32 v17, v0, v19
	v_sub_f32_e32 v15, v8, v10
	v_add_f32_e32 v8, v8, v16
	v_dual_mul_f32 v16, 0x3d64c772, v18 :: v_dual_sub_f32 v13, v3, v5
	v_fmamk_f32 v18, v18, 0x3d64c772, v14
	v_mul_f32_e32 v19, 0xbf08b237, v29
	v_dual_add_f32 v3, v3, v5 :: v_dual_add_f32 v4, v9, v4
	v_dual_mul_f32 v29, 0x3f5ff5aa, v6 :: v_dual_add_f32 v0, v30, v17
	s_delay_alu instid0(VALU_DEP_2)
	v_dual_fmamk_f32 v30, v28, 0x3eae86e6, v19 :: v_dual_add_f32 v3, v3, v1
	v_sub_f32_e32 v5, v5, v1
	v_fma_f32 v6, 0x3f5ff5aa, v6, -v19
	v_dual_sub_f32 v7, v10, v7 :: v_dual_mul_f32 v10, 0xbf08b237, v13
	v_mul_f32_e32 v13, 0x3d64c772, v15
	v_fmamk_f32 v15, v15, 0x3d64c772, v11
	s_delay_alu instid0(VALU_DEP_4) | instskip(SKIP_3) | instid1(VALU_DEP_3)
	v_fmac_f32_e32 v6, 0x3ee1c552, v4
	v_mul_f32_e32 v9, 0x3f5ff5aa, v5
	v_fmamk_f32 v32, v12, 0x3eae86e6, v10
	v_fmac_f32_e32 v30, 0x3ee1c552, v4
	v_fma_f32 v12, 0xbeae86e6, v12, -v9
	v_fma_f32 v9, 0xbf3bfb3b, v7, -v11
	;; [unrolled: 1-line block ×5, first 2 shown]
	v_fmac_f32_e32 v12, 0x3ee1c552, v3
	v_fma_f32 v10, 0x3f5ff5aa, v5, -v10
	v_add_f32_e32 v1, v31, v8
	v_fmac_f32_e32 v14, 0x3ee1c552, v4
	s_delay_alu instid0(VALU_DEP_2) | instskip(NEXT) | instid1(VALU_DEP_1)
	v_dual_fmamk_f32 v5, v8, 0xbf955555, v1 :: v_dual_fmamk_f32 v8, v17, 0xbf955555, v0
	v_add_f32_e32 v17, v11, v8
	v_add_f32_e32 v2, v2, v8
	v_fmac_f32_e32 v32, 0x3ee1c552, v3
	v_fmac_f32_e32 v10, 0x3ee1c552, v3
	s_delay_alu instid0(VALU_DEP_4) | instskip(SKIP_4) | instid1(VALU_DEP_3)
	v_sub_f32_e32 v4, v17, v14
	v_fma_f32 v7, 0x3f3bfb3b, v7, -v13
	v_add_f32_e32 v13, v15, v5
	v_add_f32_e32 v15, v18, v8
	v_sub_f32_e32 v8, v2, v6
	v_dual_add_f32 v6, v6, v2 :: v_dual_add_f32 v3, v32, v13
	s_delay_alu instid0(VALU_DEP_3) | instskip(SKIP_3) | instid1(VALU_DEP_3)
	v_sub_f32_e32 v2, v15, v30
	v_add_f32_e32 v16, v9, v5
	v_add_f32_e32 v9, v7, v5
	v_sub_f32_e32 v13, v13, v32
	v_add_f32_e32 v5, v12, v16
	v_dual_sub_f32 v11, v16, v12 :: v_dual_add_f32 v12, v30, v15
	s_delay_alu instid0(VALU_DEP_4)
	v_sub_f32_e32 v7, v9, v10
	v_add_f32_e32 v9, v10, v9
	v_add_f32_e32 v10, v14, v17
	ds_store_2addr_b64 v25, v[0:1], v[12:13] offset0:59 offset1:104
	ds_store_2addr_b64 v25, v[10:11], v[8:9] offset0:149 offset1:194
	;; [unrolled: 1-line block ×3, first 2 shown]
	ds_store_b64 v21, v[2:3] offset:4680
.LBB0_23:
	s_wait_alu 0xfffe
	s_or_b32 exec_lo, exec_lo, s1
	v_dual_mov_b32 v21, v35 :: v_dual_mov_b32 v28, v35
	v_dual_mov_b32 v25, v35 :: v_dual_add_nc_u32 v14, 0x800, v38
	global_wb scope:SCOPE_SE
	s_wait_dscnt 0x0
	v_lshlrev_b64_e32 v[0:1], 3, v[20:21]
	v_lshlrev_b64_e32 v[2:3], 3, v[27:28]
	v_mov_b32_e32 v27, v35
	v_lshlrev_b64_e32 v[4:5], 3, v[24:25]
	s_barrier_signal -1
	s_barrier_wait -1
	v_add_co_u32 v8, s0, s4, v0
	s_wait_alu 0xf1ff
	v_add_co_ci_u32_e64 v9, s0, s5, v1, s0
	v_add_co_u32 v6, s0, s4, v2
	s_wait_alu 0xf1ff
	v_add_co_ci_u32_e64 v7, s0, s5, v3, s0
	v_lshlrev_b64_e32 v[2:3], 3, v[26:27]
	v_add_co_u32 v4, s0, s4, v4
	s_wait_alu 0xf1ff
	v_add_co_ci_u32_e64 v5, s0, s5, v5, s0
	global_inv scope:SCOPE_SE
	v_add_co_u32 v2, s0, s4, v2
	s_wait_alu 0xf1ff
	v_add_co_ci_u32_e64 v3, s0, s5, v3, s0
	s_clause 0x4
	global_load_b64 v[18:19], v[8:9], off offset:2496
	global_load_b64 v[28:29], v[6:7], off offset:2496
	global_load_b64 v[30:31], v[4:5], off offset:2496
	global_load_b64 v[32:33], v[2:3], off offset:2496
	global_load_b64 v[34:35], v[8:9], off offset:4512
	ds_load_2addr_b64 v[10:13], v14 offset0:59 offset1:122
	ds_load_2addr_b64 v[14:17], v14 offset0:185 offset1:248
	ds_load_b64 v[36:37], v38 offset:4536
	ds_load_b64 v[42:43], v39
	ds_load_2addr_b64 v[24:27], v38 offset1:252
	ds_load_b64 v[44:45], v41
	ds_load_b64 v[46:47], v40
	global_wb scope:SCOPE_SE
	s_wait_loadcnt_dscnt 0x0
	s_barrier_signal -1
	s_barrier_wait -1
	global_inv scope:SCOPE_SE
	v_cmp_ne_u32_e64 s0, 0, v20
	v_mul_f32_e32 v48, v29, v13
	v_mul_f32_e32 v29, v29, v12
	v_dual_mul_f32 v21, v19, v11 :: v_dual_mul_f32 v50, v33, v17
	v_mul_f32_e32 v51, v35, v37
	s_delay_alu instid0(VALU_DEP_4) | instskip(SKIP_1) | instid1(VALU_DEP_4)
	v_fma_f32 v12, v28, v12, -v48
	v_mul_f32_e32 v19, v19, v10
	v_fma_f32 v10, v18, v10, -v21
	v_mul_f32_e32 v49, v31, v15
	v_mul_f32_e32 v35, v35, v36
	s_delay_alu instid0(VALU_DEP_4)
	v_dual_sub_f32 v12, v44, v12 :: v_dual_fmac_f32 v19, v18, v11
	v_fma_f32 v18, v34, v36, -v51
	v_mul_f32_e32 v33, v33, v16
	v_fma_f32 v16, v32, v16, -v50
	v_mul_f32_e32 v31, v31, v14
	v_sub_f32_e32 v10, v24, v10
	v_fmac_f32_e32 v29, v28, v13
	v_fma_f32 v14, v30, v14, -v49
	v_sub_f32_e32 v16, v42, v16
	v_fmac_f32_e32 v31, v30, v15
	v_fmac_f32_e32 v35, v34, v37
	v_dual_sub_f32 v11, v25, v19 :: v_dual_sub_f32 v18, v26, v18
	v_fmac_f32_e32 v33, v32, v17
	v_dual_sub_f32 v13, v45, v29 :: v_dual_sub_f32 v14, v46, v14
	v_sub_f32_e32 v15, v47, v31
	v_sub_f32_e32 v19, v27, v35
	s_delay_alu instid0(VALU_DEP_4)
	v_sub_f32_e32 v17, v43, v33
	v_fma_f32 v24, v24, 2.0, -v10
	v_fma_f32 v25, v25, 2.0, -v11
	;; [unrolled: 1-line block ×10, first 2 shown]
	ds_store_b64 v38, v[24:25]
	ds_store_b64 v38, v[10:11] offset:2520
	ds_store_b64 v41, v[28:29]
	ds_store_b64 v41, v[12:13] offset:2520
	;; [unrolled: 2-line block ×4, first 2 shown]
	ds_store_b64 v38, v[26:27] offset:2016
	ds_store_b64 v38, v[18:19] offset:4536
	global_wb scope:SCOPE_SE
	s_wait_dscnt 0x0
	s_barrier_signal -1
	s_barrier_wait -1
	global_inv scope:SCOPE_SE
	ds_load_b64 v[12:13], v38
	v_lshlrev_b32_e32 v10, 3, v20
                                        ; implicit-def: $vgpr15
                                        ; implicit-def: $vgpr16
	s_delay_alu instid0(VALU_DEP_1)
	v_sub_nc_u32_e32 v14, 0, v10
                                        ; implicit-def: $vgpr10
	s_and_saveexec_b32 s1, s0
	s_wait_alu 0xfffe
	s_xor_b32 s0, exec_lo, s1
	s_cbranch_execz .LBB0_25
; %bb.24:
	global_load_b64 v[8:9], v[8:9], off offset:5016
	ds_load_b64 v[10:11], v14 offset:5040
	s_wait_dscnt 0x0
	v_dual_sub_f32 v15, v12, v10 :: v_dual_add_f32 v16, v11, v13
	v_dual_sub_f32 v11, v13, v11 :: v_dual_add_f32 v10, v10, v12
	s_delay_alu instid0(VALU_DEP_2) | instskip(SKIP_1) | instid1(VALU_DEP_1)
	v_dual_mul_f32 v13, 0.5, v15 :: v_dual_mul_f32 v12, 0.5, v16
	s_wait_loadcnt 0x0
	v_dual_mul_f32 v11, 0.5, v11 :: v_dual_mul_f32 v16, v9, v13
	s_delay_alu instid0(VALU_DEP_1) | instskip(SKIP_1) | instid1(VALU_DEP_3)
	v_fma_f32 v17, v12, v9, v11
	v_fma_f32 v9, v12, v9, -v11
	v_fma_f32 v15, 0.5, v10, v16
	v_fma_f32 v10, v10, 0.5, -v16
	s_delay_alu instid0(VALU_DEP_4) | instskip(NEXT) | instid1(VALU_DEP_4)
	v_fma_f32 v16, -v8, v13, v17
	v_fma_f32 v11, -v8, v13, v9
	s_delay_alu instid0(VALU_DEP_4) | instskip(NEXT) | instid1(VALU_DEP_4)
	v_fmac_f32_e32 v15, v8, v12
	v_fma_f32 v10, -v8, v12, v10
                                        ; implicit-def: $vgpr12_vgpr13
.LBB0_25:
	s_wait_alu 0xfffe
	s_and_not1_saveexec_b32 s0, s0
	s_cbranch_execz .LBB0_27
; %bb.26:
	s_wait_dscnt 0x0
	v_dual_mov_b32 v16, 0 :: v_dual_add_f32 v15, v12, v13
	v_dual_sub_f32 v10, v12, v13 :: v_dual_mov_b32 v11, 0
	ds_load_b32 v8, v16 offset:2524
	s_wait_dscnt 0x0
	v_xor_b32_e32 v8, 0x80000000, v8
	ds_store_b32 v16, v8 offset:2524
.LBB0_27:
	s_wait_alu 0xfffe
	s_or_b32 exec_lo, exec_lo, s0
	s_clause 0x2
	global_load_b64 v[6:7], v[6:7], off offset:5016
	global_load_b64 v[4:5], v[4:5], off offset:5016
	;; [unrolled: 1-line block ×3, first 2 shown]
	s_add_nc_u64 s[0:1], s[4:5], 0x1398
	s_wait_alu 0xfffe
	v_add_co_u32 v8, s0, s0, v0
	s_wait_alu 0xf1ff
	v_add_co_ci_u32_e64 v9, s0, s1, v1, s0
	global_load_b64 v[8:9], v[8:9], off offset:2016
	ds_store_2addr_b32 v38, v15, v16 offset1:1
	ds_store_b64 v14, v[10:11] offset:5040
	ds_load_b64 v[10:11], v41
	s_wait_dscnt 0x3
	ds_load_b64 v[12:13], v14 offset:4536
	s_wait_dscnt 0x0
	v_dual_sub_f32 v15, v10, v12 :: v_dual_add_f32 v16, v11, v13
	v_dual_sub_f32 v11, v11, v13 :: v_dual_add_f32 v10, v10, v12
	s_delay_alu instid0(VALU_DEP_2) | instskip(NEXT) | instid1(VALU_DEP_3)
	v_mul_f32_e32 v13, 0.5, v15
	v_mul_f32_e32 v15, 0.5, v16
	s_wait_loadcnt 0x3
	s_delay_alu instid0(VALU_DEP_2) | instskip(NEXT) | instid1(VALU_DEP_1)
	v_dual_mul_f32 v11, 0.5, v11 :: v_dual_mul_f32 v12, v7, v13
	v_fma_f32 v16, v15, v7, v11
	v_fma_f32 v7, v15, v7, -v11
	s_delay_alu instid0(VALU_DEP_3) | instskip(SKIP_1) | instid1(VALU_DEP_4)
	v_fma_f32 v11, 0.5, v10, v12
	v_fma_f32 v10, v10, 0.5, -v12
	v_fma_f32 v12, -v6, v13, v16
	s_delay_alu instid0(VALU_DEP_4) | instskip(NEXT) | instid1(VALU_DEP_4)
	v_fma_f32 v7, -v6, v13, v7
	v_fmac_f32_e32 v11, v6, v15
	s_delay_alu instid0(VALU_DEP_4)
	v_fma_f32 v6, -v6, v15, v10
	ds_store_b32 v41, v12 offset:4
	ds_store_b32 v14, v7 offset:4540
	ds_store_b32 v41, v11
	ds_store_b32 v14, v6 offset:4536
	ds_load_b64 v[6:7], v40
	ds_load_b64 v[10:11], v14 offset:4032
	s_wait_dscnt 0x0
	v_dual_sub_f32 v12, v6, v10 :: v_dual_add_f32 v13, v7, v11
	v_dual_add_f32 v6, v6, v10 :: v_dual_sub_f32 v7, v7, v11
	s_delay_alu instid0(VALU_DEP_2) | instskip(NEXT) | instid1(VALU_DEP_2)
	v_dual_mul_f32 v11, 0.5, v12 :: v_dual_mul_f32 v12, 0.5, v13
	v_mul_f32_e32 v7, 0.5, v7
	s_wait_loadcnt 0x2
	s_delay_alu instid0(VALU_DEP_2) | instskip(NEXT) | instid1(VALU_DEP_2)
	v_mul_f32_e32 v10, v5, v11
	v_fma_f32 v13, v12, v5, v7
	v_fma_f32 v5, v12, v5, -v7
	s_delay_alu instid0(VALU_DEP_3) | instskip(NEXT) | instid1(VALU_DEP_2)
	v_fma_f32 v7, 0.5, v6, v10
	v_fma_f32 v5, -v4, v11, v5
	s_delay_alu instid0(VALU_DEP_2) | instskip(SKIP_2) | instid1(VALU_DEP_2)
	v_fmac_f32_e32 v7, v4, v12
	v_fma_f32 v6, v6, 0.5, -v10
	v_fma_f32 v10, -v4, v11, v13
	v_fma_f32 v4, -v4, v12, v6
	ds_store_b32 v40, v10 offset:4
	ds_store_b32 v14, v5 offset:4036
	ds_store_b32 v40, v7
	ds_store_b32 v14, v4 offset:4032
	ds_load_b64 v[4:5], v39
	ds_load_b64 v[6:7], v14 offset:3528
	s_wait_dscnt 0x0
	v_dual_sub_f32 v10, v4, v6 :: v_dual_add_f32 v11, v5, v7
	v_dual_sub_f32 v5, v5, v7 :: v_dual_add_f32 v4, v4, v6
	s_delay_alu instid0(VALU_DEP_2) | instskip(SKIP_1) | instid1(VALU_DEP_1)
	v_dual_mul_f32 v7, 0.5, v10 :: v_dual_mul_f32 v10, 0.5, v11
	s_wait_loadcnt 0x1
	v_dual_mul_f32 v5, 0.5, v5 :: v_dual_mul_f32 v6, v3, v7
	s_delay_alu instid0(VALU_DEP_1) | instskip(SKIP_1) | instid1(VALU_DEP_3)
	v_fma_f32 v11, v10, v3, v5
	v_fma_f32 v3, v10, v3, -v5
	v_fma_f32 v5, 0.5, v4, v6
	v_fma_f32 v4, v4, 0.5, -v6
	s_delay_alu instid0(VALU_DEP_4) | instskip(NEXT) | instid1(VALU_DEP_4)
	v_fma_f32 v6, -v2, v7, v11
	v_fma_f32 v3, -v2, v7, v3
	s_delay_alu instid0(VALU_DEP_4) | instskip(NEXT) | instid1(VALU_DEP_4)
	v_fmac_f32_e32 v5, v2, v10
	v_fma_f32 v2, -v2, v10, v4
	ds_store_2addr_b32 v39, v5, v6 offset1:1
	ds_store_b64 v14, v[2:3] offset:3528
	ds_load_b64 v[2:3], v38 offset:2016
	ds_load_b64 v[4:5], v14 offset:3024
	s_wait_dscnt 0x0
	v_dual_sub_f32 v6, v2, v4 :: v_dual_add_f32 v7, v3, v5
	v_dual_sub_f32 v3, v3, v5 :: v_dual_add_f32 v2, v2, v4
	s_delay_alu instid0(VALU_DEP_2) | instskip(SKIP_1) | instid1(VALU_DEP_1)
	v_dual_mul_f32 v5, 0.5, v6 :: v_dual_mul_f32 v6, 0.5, v7
	s_wait_loadcnt 0x0
	v_dual_mul_f32 v3, 0.5, v3 :: v_dual_mul_f32 v4, v9, v5
	s_delay_alu instid0(VALU_DEP_1) | instskip(SKIP_1) | instid1(VALU_DEP_3)
	v_fma_f32 v7, v6, v9, v3
	v_fma_f32 v3, v6, v9, -v3
	v_fma_f32 v9, 0.5, v2, v4
	v_fma_f32 v10, v2, 0.5, -v4
	v_add_nc_u32_e32 v2, 0x400, v38
	v_fma_f32 v7, -v8, v5, v7
	v_fma_f32 v4, -v8, v5, v3
	v_fmac_f32_e32 v9, v8, v6
	v_fma_f32 v3, -v8, v6, v10
	ds_store_2addr_b32 v2, v9, v7 offset0:248 offset1:249
	ds_store_b64 v14, v[3:4] offset:3024
	global_wb scope:SCOPE_SE
	s_wait_dscnt 0x0
	s_barrier_signal -1
	s_barrier_wait -1
	global_inv scope:SCOPE_SE
	s_and_saveexec_b32 s0, vcc_lo
	s_cbranch_execz .LBB0_30
; %bb.28:
	v_add_nc_u32_e32 v3, 0x800, v38
	v_add_nc_u32_e32 v21, 0xc00, v38
	ds_load_2addr_b64 v[4:7], v38 offset1:63
	ds_load_2addr_b64 v[8:11], v38 offset0:126 offset1:189
	ds_load_2addr_b64 v[12:15], v2 offset0:124 offset1:187
	;; [unrolled: 1-line block ×4, first 2 shown]
	v_add_co_u32 v2, vcc_lo, s8, v22
	s_wait_alu 0xfffd
	v_add_co_ci_u32_e32 v3, vcc_lo, s9, v23, vcc_lo
	s_delay_alu instid0(VALU_DEP_2) | instskip(SKIP_1) | instid1(VALU_DEP_2)
	v_add_co_u32 v0, vcc_lo, v2, v0
	s_wait_alu 0xfffd
	v_add_co_ci_u32_e32 v1, vcc_lo, v3, v1, vcc_lo
	v_cmp_eq_u32_e32 vcc_lo, 62, v20
	s_wait_dscnt 0x4
	s_clause 0x1
	global_store_b64 v[0:1], v[4:5], off
	global_store_b64 v[0:1], v[6:7], off offset:504
	s_wait_dscnt 0x3
	s_clause 0x1
	global_store_b64 v[0:1], v[8:9], off offset:1008
	global_store_b64 v[0:1], v[10:11], off offset:1512
	s_wait_dscnt 0x2
	s_clause 0x1
	global_store_b64 v[0:1], v[12:13], off offset:2016
	;; [unrolled: 4-line block ×4, first 2 shown]
	global_store_b64 v[0:1], v[26:27], off offset:4536
	s_and_b32 exec_lo, exec_lo, vcc_lo
	s_cbranch_execz .LBB0_30
; %bb.29:
	v_mov_b32_e32 v0, 0
	ds_load_b64 v[0:1], v0 offset:5040
	s_wait_dscnt 0x0
	global_store_b64 v[2:3], v[0:1], off offset:5040
.LBB0_30:
	s_nop 0
	s_sendmsg sendmsg(MSG_DEALLOC_VGPRS)
	s_endpgm
	.section	.rodata,"a",@progbits
	.p2align	6, 0x0
	.amdhsa_kernel fft_rtc_fwd_len630_factors_3_3_5_7_2_wgs_63_tpt_63_halfLds_sp_ip_CI_unitstride_sbrr_R2C_dirReg
		.amdhsa_group_segment_fixed_size 0
		.amdhsa_private_segment_fixed_size 0
		.amdhsa_kernarg_size 88
		.amdhsa_user_sgpr_count 2
		.amdhsa_user_sgpr_dispatch_ptr 0
		.amdhsa_user_sgpr_queue_ptr 0
		.amdhsa_user_sgpr_kernarg_segment_ptr 1
		.amdhsa_user_sgpr_dispatch_id 0
		.amdhsa_user_sgpr_private_segment_size 0
		.amdhsa_wavefront_size32 1
		.amdhsa_uses_dynamic_stack 0
		.amdhsa_enable_private_segment 0
		.amdhsa_system_sgpr_workgroup_id_x 1
		.amdhsa_system_sgpr_workgroup_id_y 0
		.amdhsa_system_sgpr_workgroup_id_z 0
		.amdhsa_system_sgpr_workgroup_info 0
		.amdhsa_system_vgpr_workitem_id 0
		.amdhsa_next_free_vgpr 74
		.amdhsa_next_free_sgpr 32
		.amdhsa_reserve_vcc 1
		.amdhsa_float_round_mode_32 0
		.amdhsa_float_round_mode_16_64 0
		.amdhsa_float_denorm_mode_32 3
		.amdhsa_float_denorm_mode_16_64 3
		.amdhsa_fp16_overflow 0
		.amdhsa_workgroup_processor_mode 1
		.amdhsa_memory_ordered 1
		.amdhsa_forward_progress 0
		.amdhsa_round_robin_scheduling 0
		.amdhsa_exception_fp_ieee_invalid_op 0
		.amdhsa_exception_fp_denorm_src 0
		.amdhsa_exception_fp_ieee_div_zero 0
		.amdhsa_exception_fp_ieee_overflow 0
		.amdhsa_exception_fp_ieee_underflow 0
		.amdhsa_exception_fp_ieee_inexact 0
		.amdhsa_exception_int_div_zero 0
	.end_amdhsa_kernel
	.text
.Lfunc_end0:
	.size	fft_rtc_fwd_len630_factors_3_3_5_7_2_wgs_63_tpt_63_halfLds_sp_ip_CI_unitstride_sbrr_R2C_dirReg, .Lfunc_end0-fft_rtc_fwd_len630_factors_3_3_5_7_2_wgs_63_tpt_63_halfLds_sp_ip_CI_unitstride_sbrr_R2C_dirReg
                                        ; -- End function
	.section	.AMDGPU.csdata,"",@progbits
; Kernel info:
; codeLenInByte = 8448
; NumSgprs: 34
; NumVgprs: 74
; ScratchSize: 0
; MemoryBound: 0
; FloatMode: 240
; IeeeMode: 1
; LDSByteSize: 0 bytes/workgroup (compile time only)
; SGPRBlocks: 4
; VGPRBlocks: 9
; NumSGPRsForWavesPerEU: 34
; NumVGPRsForWavesPerEU: 74
; Occupancy: 16
; WaveLimiterHint : 1
; COMPUTE_PGM_RSRC2:SCRATCH_EN: 0
; COMPUTE_PGM_RSRC2:USER_SGPR: 2
; COMPUTE_PGM_RSRC2:TRAP_HANDLER: 0
; COMPUTE_PGM_RSRC2:TGID_X_EN: 1
; COMPUTE_PGM_RSRC2:TGID_Y_EN: 0
; COMPUTE_PGM_RSRC2:TGID_Z_EN: 0
; COMPUTE_PGM_RSRC2:TIDIG_COMP_CNT: 0
	.text
	.p2alignl 7, 3214868480
	.fill 96, 4, 3214868480
	.type	__hip_cuid_42b5a730a88aa613,@object ; @__hip_cuid_42b5a730a88aa613
	.section	.bss,"aw",@nobits
	.globl	__hip_cuid_42b5a730a88aa613
__hip_cuid_42b5a730a88aa613:
	.byte	0                               ; 0x0
	.size	__hip_cuid_42b5a730a88aa613, 1

	.ident	"AMD clang version 19.0.0git (https://github.com/RadeonOpenCompute/llvm-project roc-6.4.0 25133 c7fe45cf4b819c5991fe208aaa96edf142730f1d)"
	.section	".note.GNU-stack","",@progbits
	.addrsig
	.addrsig_sym __hip_cuid_42b5a730a88aa613
	.amdgpu_metadata
---
amdhsa.kernels:
  - .args:
      - .actual_access:  read_only
        .address_space:  global
        .offset:         0
        .size:           8
        .value_kind:     global_buffer
      - .offset:         8
        .size:           8
        .value_kind:     by_value
      - .actual_access:  read_only
        .address_space:  global
        .offset:         16
        .size:           8
        .value_kind:     global_buffer
      - .actual_access:  read_only
        .address_space:  global
        .offset:         24
        .size:           8
        .value_kind:     global_buffer
      - .offset:         32
        .size:           8
        .value_kind:     by_value
      - .actual_access:  read_only
        .address_space:  global
        .offset:         40
        .size:           8
        .value_kind:     global_buffer
      - .actual_access:  read_only
        .address_space:  global
        .offset:         48
        .size:           8
        .value_kind:     global_buffer
      - .offset:         56
        .size:           4
        .value_kind:     by_value
      - .actual_access:  read_only
        .address_space:  global
        .offset:         64
        .size:           8
        .value_kind:     global_buffer
      - .actual_access:  read_only
        .address_space:  global
        .offset:         72
        .size:           8
        .value_kind:     global_buffer
      - .address_space:  global
        .offset:         80
        .size:           8
        .value_kind:     global_buffer
    .group_segment_fixed_size: 0
    .kernarg_segment_align: 8
    .kernarg_segment_size: 88
    .language:       OpenCL C
    .language_version:
      - 2
      - 0
    .max_flat_workgroup_size: 63
    .name:           fft_rtc_fwd_len630_factors_3_3_5_7_2_wgs_63_tpt_63_halfLds_sp_ip_CI_unitstride_sbrr_R2C_dirReg
    .private_segment_fixed_size: 0
    .sgpr_count:     34
    .sgpr_spill_count: 0
    .symbol:         fft_rtc_fwd_len630_factors_3_3_5_7_2_wgs_63_tpt_63_halfLds_sp_ip_CI_unitstride_sbrr_R2C_dirReg.kd
    .uniform_work_group_size: 1
    .uses_dynamic_stack: false
    .vgpr_count:     74
    .vgpr_spill_count: 0
    .wavefront_size: 32
    .workgroup_processor_mode: 1
amdhsa.target:   amdgcn-amd-amdhsa--gfx1201
amdhsa.version:
  - 1
  - 2
...

	.end_amdgpu_metadata
